;; amdgpu-corpus repo=ROCm/rocFFT kind=compiled arch=gfx906 opt=O3
	.text
	.amdgcn_target "amdgcn-amd-amdhsa--gfx906"
	.amdhsa_code_object_version 6
	.protected	bluestein_single_fwd_len11_dim1_dp_op_CI_CI ; -- Begin function bluestein_single_fwd_len11_dim1_dp_op_CI_CI
	.globl	bluestein_single_fwd_len11_dim1_dp_op_CI_CI
	.p2align	8
	.type	bluestein_single_fwd_len11_dim1_dp_op_CI_CI,@function
bluestein_single_fwd_len11_dim1_dp_op_CI_CI: ; @bluestein_single_fwd_len11_dim1_dp_op_CI_CI
; %bb.0:
	s_load_dwordx4 s[12:15], s[4:5], 0x28
	v_lshl_or_b32 v4, s6, 7, v0
	v_mov_b32_e32 v5, 0
	s_waitcnt lgkmcnt(0)
	v_cmp_gt_u64_e32 vcc, s[12:13], v[4:5]
	s_and_saveexec_b64 s[0:1], vcc
	s_cbranch_execz .LBB0_2
; %bb.1:
	s_load_dwordx4 s[8:11], s[4:5], 0x18
	s_mov_b64 s[6:7], s[4:5]
	v_mov_b32_e32 v5, s15
                                        ; implicit-def: $vgpr103 : SGPR spill to VGPR lane
	s_mov_b32 s28, 0xf8bb580b
	v_writelane_b32 v103, s6, 0
	s_waitcnt lgkmcnt(0)
	s_load_dwordx4 s[0:3], s[8:9], 0x0
	s_load_dwordx2 s[24:25], s[6:7], 0x0
	v_writelane_b32 v103, s7, 1
	s_mov_b32 s29, 0xbfe14ced
	s_mov_b32 s86, 0x8764f0ba
	s_waitcnt lgkmcnt(0)
	v_mad_u64_u32 v[1:2], s[4:5], s2, v4, 0
	s_lshl_b64 s[4:5], s[0:1], 4
	s_mov_b32 s87, 0x3feaeb8c
	v_mad_u64_u32 v[2:3], s[2:3], s3, v4, v[2:3]
	v_mov_b32_e32 v3, s5
	s_lshl_b64 s[2:3], s[0:1], 5
	v_lshlrev_b64 v[1:2], 4, v[1:2]
	v_mov_b32_e32 v7, s3
	v_add_co_u32_e32 v1, vcc, s14, v1
	v_addc_co_u32_e32 v2, vcc, v5, v2, vcc
	v_add_co_u32_e32 v5, vcc, s4, v1
	v_addc_co_u32_e32 v6, vcc, v2, v3, vcc
	global_load_dwordx4 v[11:14], v[1:2], off
	global_load_dwordx4 v[15:18], v[5:6], off
	v_add_co_u32_e32 v5, vcc, s2, v1
	v_mad_u64_u32 v[9:10], s[2:3], s0, 48, v[1:2]
	v_addc_co_u32_e32 v6, vcc, v2, v7, vcc
	s_lshl_b64 s[2:3], s[0:1], 6
	v_mov_b32_e32 v3, s3
	v_add_co_u32_e32 v7, vcc, s2, v1
	v_addc_co_u32_e32 v8, vcc, v2, v3, vcc
	global_load_dwordx4 v[19:22], v[5:6], off
	global_load_dwordx4 v[23:26], v[7:8], off
	v_mov_b32_e32 v6, 0x50
	v_mad_u64_u32 v[35:36], s[2:3], s0, v6, v[1:2]
	v_mov_b32_e32 v7, 0x60
	v_mad_u64_u32 v[37:38], s[2:3], s0, v7, v[1:2]
	s_mul_i32 s2, s1, 0x50
	v_add_u32_e32 v36, s2, v36
	s_mul_i32 s2, s1, 0x60
	v_mov_b32_e32 v5, 0x70
	v_add_u32_e32 v38, s2, v38
	v_mad_u64_u32 v[39:40], s[2:3], s0, v5, v[1:2]
	s_lshl_b64 s[2:3], s[0:1], 7
	v_mov_b32_e32 v8, 0x90
	global_load_dwordx4 v[27:30], v[35:36], off
	global_load_dwordx4 v[31:34], v[37:38], off
	v_mov_b32_e32 v3, s3
	v_add_co_u32_e32 v35, vcc, s2, v1
	v_mad_u64_u32 v[43:44], s[2:3], s0, v8, v[1:2]
	v_addc_co_u32_e32 v36, vcc, v2, v3, vcc
	s_mul_i32 s2, s1, 0x90
	v_mov_b32_e32 v3, v10
	v_add_u32_e32 v44, s2, v44
	v_mad_u64_u32 v[47:48], s[2:3], s1, 48, v[3:4]
	s_mul_i32 s4, s1, 0x70
	v_add_u32_e32 v40, s4, v40
	v_mov_b32_e32 v10, v47
	global_load_dwordx4 v[39:42], v[39:40], off
	s_load_dwordx16 s[52:67], s[24:25], 0x0
	global_load_dwordx4 v[47:50], v[9:10], off
	v_mov_b32_e32 v9, 0xa0
	v_mad_u64_u32 v[1:2], s[2:3], s0, v9, v[1:2]
	global_load_dwordx4 v[35:38], v[35:36], off
	s_mul_i32 s0, s1, 0xa0
	global_load_dwordx4 v[43:46], v[43:44], off
	v_add_u32_e32 v2, s0, v2
	global_load_dwordx4 v[51:54], v[1:2], off
	v_mul_u32_u24_e32 v10, 0xb0, v0
	s_load_dwordx4 s[4:7], s[10:11], 0x0
	s_load_dwordx16 s[36:51], s[24:25], 0x40
                                        ; kill: killed $sgpr10_sgpr11
	s_nop 0
	s_load_dwordx16 s[8:23], s[24:25], 0x80
	s_mov_b32 s0, 0x8eee2c13
	s_mov_b32 s1, 0xbfed1bb4
	;; [unrolled: 1-line block ×16, first 2 shown]
	s_mov_b32 vcc_hi, 0x3fd207e7
	s_mov_b32 vcc_lo, s30
	s_mov_b32 s85, 0x3fefac9e
	s_mov_b32 s84, s26
	s_mov_b32 s89, 0x3fe14ced
	s_waitcnt vmcnt(10) lgkmcnt(0)
	v_mul_f64 v[0:1], v[13:14], s[54:55]
	v_mul_f64 v[2:3], v[11:12], s[54:55]
	s_waitcnt vmcnt(9)
	v_mul_f64 v[55:56], v[17:18], s[58:59]
	v_mul_f64 v[57:58], v[15:16], s[58:59]
	s_mov_b32 s88, s28
	v_fma_f64 v[0:1], v[11:12], s[52:53], v[0:1]
	v_fma_f64 v[2:3], v[13:14], s[52:53], -v[2:3]
	v_fma_f64 v[11:12], v[15:16], s[56:57], v[55:56]
	v_fma_f64 v[13:14], v[17:18], s[56:57], -v[57:58]
	s_waitcnt vmcnt(8)
	v_mul_f64 v[59:60], v[21:22], s[62:63]
	v_mul_f64 v[61:62], v[19:20], s[62:63]
	s_waitcnt vmcnt(7)
	v_mul_f64 v[65:66], v[23:24], s[38:39]
	v_mul_f64 v[63:64], v[25:26], s[38:39]
	v_fma_f64 v[15:16], v[19:20], s[60:61], v[59:60]
	v_fma_f64 v[17:18], v[21:22], s[60:61], -v[61:62]
	v_fma_f64 v[21:22], v[25:26], s[36:37], -v[65:66]
	ds_write_b128 v10, v[0:3]
	ds_write_b128 v10, v[11:14] offset:16
	ds_write_b128 v10, v[15:18] offset:32
	s_waitcnt vmcnt(6)
	v_mul_f64 v[73:74], v[27:28], s[42:43]
	s_waitcnt vmcnt(5)
	v_mul_f64 v[77:78], v[31:32], s[46:47]
	v_mul_f64 v[71:72], v[29:30], s[42:43]
	;; [unrolled: 1-line block ×3, first 2 shown]
	v_fma_f64 v[19:20], v[23:24], s[36:37], v[63:64]
	v_fma_f64 v[25:26], v[29:30], s[40:41], -v[73:74]
	v_fma_f64 v[29:30], v[33:34], s[44:45], -v[77:78]
	v_fma_f64 v[23:24], v[27:28], s[40:41], v[71:72]
	v_fma_f64 v[27:28], v[31:32], s[44:45], v[75:76]
	s_waitcnt vmcnt(4)
	v_mul_f64 v[79:80], v[41:42], s[50:51]
	v_mul_f64 v[81:82], v[39:40], s[50:51]
	s_waitcnt vmcnt(3)
	v_mul_f64 v[55:56], v[49:50], s[66:67]
	v_mul_f64 v[57:58], v[47:48], s[66:67]
	;; [unrolled: 3-line block ×4, first 2 shown]
	v_fma_f64 v[0:1], v[47:48], s[64:65], v[55:56]
	v_fma_f64 v[2:3], v[49:50], s[64:65], -v[57:58]
	s_waitcnt vmcnt(0)
	v_mul_f64 v[47:48], v[53:54], s[18:19]
	v_mul_f64 v[49:50], v[51:52], s[18:19]
	v_fma_f64 v[11:12], v[39:40], s[48:49], v[79:80]
	v_fma_f64 v[13:14], v[41:42], s[48:49], -v[81:82]
	v_fma_f64 v[15:16], v[35:36], s[8:9], v[67:68]
	v_fma_f64 v[17:18], v[37:38], s[8:9], -v[69:70]
	;; [unrolled: 2-line block ×4, first 2 shown]
	ds_write_b128 v10, v[0:3] offset:48
	ds_write_b128 v10, v[19:22] offset:64
	;; [unrolled: 1-line block ×8, first 2 shown]
	s_waitcnt lgkmcnt(0)
	s_barrier
	ds_read_b128 v[11:14], v10
	ds_read_b128 v[0:3], v10 offset:16
	ds_read_b128 v[15:18], v10 offset:32
	ds_read_b128 v[19:22], v10 offset:48
	s_waitcnt lgkmcnt(2)
	v_add_f64 v[23:24], v[11:12], v[0:1]
	v_add_f64 v[25:26], v[13:14], v[2:3]
	s_waitcnt lgkmcnt(1)
	v_add_f64 v[23:24], v[23:24], v[15:16]
	v_add_f64 v[25:26], v[25:26], v[17:18]
	;; [unrolled: 3-line block ×3, first 2 shown]
	ds_read_b128 v[23:26], v10 offset:64
	ds_read_b128 v[27:30], v10 offset:80
	;; [unrolled: 1-line block ×3, first 2 shown]
	s_waitcnt lgkmcnt(2)
	v_add_f64 v[35:36], v[31:32], v[23:24]
	v_add_f64 v[37:38], v[33:34], v[25:26]
	ds_read_b128 v[31:34], v10 offset:160
	s_waitcnt lgkmcnt(0)
	v_add_f64 v[51:52], v[2:3], -v[33:34]
	v_add_f64 v[43:44], v[35:36], v[27:28]
	v_add_f64 v[45:46], v[37:38], v[29:30]
	ds_read_b128 v[35:38], v10 offset:96
	v_add_f64 v[53:54], v[0:1], -v[31:32]
	v_add_f64 v[55:56], v[0:1], v[31:32]
	v_add_f64 v[57:58], v[2:3], v[33:34]
	v_mul_f64 v[0:1], v[51:52], s[28:29]
	s_waitcnt lgkmcnt(0)
	v_add_f64 v[43:44], v[43:44], v[35:36]
	v_add_f64 v[45:46], v[45:46], v[37:38]
	v_mul_f64 v[63:64], v[51:52], s[0:1]
	v_mul_f64 v[2:3], v[53:54], s[28:29]
	;; [unrolled: 1-line block ×3, first 2 shown]
	v_fma_f64 v[67:68], v[55:56], s[86:87], -v[0:1]
	v_add_f64 v[59:60], v[43:44], v[39:40]
	v_add_f64 v[61:62], v[45:46], v[41:42]
	ds_read_b128 v[43:46], v10 offset:128
	ds_read_b128 v[47:50], v10 offset:144
	v_fma_f64 v[0:1], v[55:56], s[86:87], v[0:1]
	v_fma_f64 v[69:70], v[57:58], s[86:87], v[2:3]
	v_fma_f64 v[2:3], v[57:58], s[86:87], -v[2:3]
	v_fma_f64 v[71:72], v[55:56], s[34:35], -v[63:64]
	s_waitcnt lgkmcnt(0)
	v_add_f64 v[87:88], v[17:18], -v[49:50]
	v_add_f64 v[59:60], v[59:60], v[43:44]
	v_add_f64 v[61:62], v[61:62], v[45:46]
	v_add_f64 v[89:90], v[15:16], -v[47:48]
	v_add_f64 v[75:76], v[11:12], v[0:1]
	v_add_f64 v[15:16], v[15:16], v[47:48]
	;; [unrolled: 1-line block ×3, first 2 shown]
	v_fma_f64 v[73:74], v[57:58], s[34:35], v[65:66]
	v_mul_f64 v[95:96], v[87:88], s[92:93]
	v_add_f64 v[59:60], v[59:60], v[47:48]
	v_add_f64 v[61:62], v[61:62], v[49:50]
	v_mul_f64 v[47:48], v[87:88], s[0:1]
	v_add_f64 v[17:18], v[17:18], v[49:50]
	v_mul_f64 v[49:50], v[89:90], s[0:1]
	v_mul_f64 v[97:98], v[89:90], s[92:93]
	v_fma_f64 v[63:64], v[55:56], s[34:35], v[63:64]
	v_add_f64 v[67:68], v[11:12], v[67:68]
	v_add_f64 v[0:1], v[59:60], v[31:32]
	v_mul_f64 v[31:32], v[51:52], s[26:27]
	v_mul_f64 v[59:60], v[51:52], s[92:93]
	;; [unrolled: 1-line block ×3, first 2 shown]
	v_add_f64 v[2:3], v[61:62], v[33:34]
	v_mul_f64 v[33:34], v[53:54], s[26:27]
	v_mul_f64 v[61:62], v[53:54], s[92:93]
	;; [unrolled: 1-line block ×3, first 2 shown]
	s_mov_b32 s2, 0x9bcd5057
	s_mov_b32 s3, 0xbfeeb42a
	v_add_f64 v[71:72], v[11:12], v[71:72]
	v_fma_f64 v[79:80], v[55:56], s[90:91], -v[31:32]
	v_fma_f64 v[31:32], v[55:56], s[90:91], v[31:32]
	v_fma_f64 v[83:84], v[55:56], s[94:95], -v[59:60]
	v_fma_f64 v[59:60], v[55:56], s[94:95], v[59:60]
	;; [unrolled: 2-line block ×3, first 2 shown]
	v_fma_f64 v[55:56], v[15:16], s[34:35], -v[47:48]
	v_fma_f64 v[99:100], v[15:16], s[94:95], -v[95:96]
	v_fma_f64 v[65:66], v[57:58], s[34:35], -v[65:66]
	v_add_f64 v[69:70], v[13:14], v[69:70]
	v_add_f64 v[73:74], v[13:14], v[73:74]
	v_fma_f64 v[81:82], v[57:58], s[90:91], v[33:34]
	v_fma_f64 v[33:34], v[57:58], s[90:91], -v[33:34]
	v_fma_f64 v[85:86], v[57:58], s[94:95], v[61:62]
	v_fma_f64 v[61:62], v[57:58], s[94:95], -v[61:62]
	;; [unrolled: 2-line block ×3, first 2 shown]
	v_fma_f64 v[57:58], v[17:18], s[34:35], v[49:50]
	v_fma_f64 v[101:102], v[17:18], s[94:95], v[97:98]
	v_add_f64 v[63:64], v[11:12], v[63:64]
	v_add_f64 v[79:80], v[11:12], v[79:80]
	;; [unrolled: 1-line block ×6, first 2 shown]
	v_fma_f64 v[47:48], v[15:16], s[34:35], v[47:48]
	v_add_f64 v[11:12], v[11:12], v[51:52]
	v_add_f64 v[51:52], v[55:56], v[67:68]
	;; [unrolled: 1-line block ×3, first 2 shown]
	v_mul_f64 v[67:68], v[87:88], vcc
	v_mul_f64 v[71:72], v[87:88], s[84:85]
	v_add_f64 v[65:66], v[13:14], v[65:66]
	v_add_f64 v[81:82], v[13:14], v[81:82]
	;; [unrolled: 1-line block ×6, first 2 shown]
	v_fma_f64 v[49:50], v[17:18], s[34:35], -v[49:50]
	v_add_f64 v[13:14], v[13:14], v[53:54]
	v_add_f64 v[53:54], v[57:58], v[69:70]
	;; [unrolled: 1-line block ×3, first 2 shown]
	v_mul_f64 v[69:70], v[89:90], vcc
	v_mul_f64 v[73:74], v[89:90], s[84:85]
	v_add_f64 v[47:48], v[47:48], v[75:76]
	v_fma_f64 v[75:76], v[15:16], s[94:95], v[95:96]
	v_fma_f64 v[95:96], v[15:16], s[2:3], -v[67:68]
	v_fma_f64 v[67:68], v[15:16], s[2:3], v[67:68]
	v_fma_f64 v[99:100], v[15:16], s[90:91], -v[71:72]
	v_add_f64 v[49:50], v[49:50], v[77:78]
	v_fma_f64 v[77:78], v[17:18], s[94:95], -v[97:98]
	v_fma_f64 v[97:98], v[17:18], s[2:3], v[69:70]
	v_fma_f64 v[69:70], v[17:18], s[2:3], -v[69:70]
	v_fma_f64 v[101:102], v[17:18], s[90:91], v[73:74]
	v_add_f64 v[63:64], v[75:76], v[63:64]
	v_add_f64 v[75:76], v[95:96], v[79:80]
	;; [unrolled: 1-line block ×4, first 2 shown]
	v_add_f64 v[79:80], v[21:22], -v[45:46]
	v_mul_f64 v[83:84], v[87:88], s[88:89]
	v_add_f64 v[65:66], v[77:78], v[65:66]
	v_add_f64 v[77:78], v[97:98], v[81:82]
	;; [unrolled: 1-line block ×4, first 2 shown]
	v_add_f64 v[81:82], v[19:20], -v[43:44]
	v_mul_f64 v[85:86], v[89:90], s[88:89]
	v_fma_f64 v[71:72], v[15:16], s[90:91], v[71:72]
	v_add_f64 v[19:20], v[19:20], v[43:44]
	v_mul_f64 v[43:44], v[79:80], s[26:27]
	v_fma_f64 v[87:88], v[15:16], s[86:87], -v[83:84]
	v_fma_f64 v[73:74], v[17:18], s[90:91], -v[73:74]
	v_add_f64 v[21:22], v[21:22], v[45:46]
	v_mul_f64 v[45:46], v[81:82], s[26:27]
	v_fma_f64 v[89:90], v[17:18], s[86:87], v[85:86]
	v_add_f64 v[59:60], v[71:72], v[59:60]
	v_fma_f64 v[15:16], v[15:16], s[86:87], v[83:84]
	v_fma_f64 v[71:72], v[19:20], s[90:91], -v[43:44]
	v_add_f64 v[83:84], v[87:88], v[91:92]
	v_mul_f64 v[87:88], v[79:80], vcc
	v_add_f64 v[61:62], v[73:74], v[61:62]
	v_fma_f64 v[17:18], v[17:18], s[86:87], -v[85:86]
	v_fma_f64 v[73:74], v[21:22], s[90:91], v[45:46]
	v_add_f64 v[85:86], v[89:90], v[93:94]
	v_mul_f64 v[89:90], v[81:82], vcc
	v_add_f64 v[11:12], v[15:16], v[11:12]
	v_add_f64 v[15:16], v[71:72], v[51:52]
	v_fma_f64 v[43:44], v[19:20], s[90:91], v[43:44]
	v_fma_f64 v[51:52], v[19:20], s[2:3], -v[87:88]
	v_add_f64 v[13:14], v[17:18], v[13:14]
	v_add_f64 v[17:18], v[73:74], v[53:54]
	v_fma_f64 v[45:46], v[21:22], s[90:91], -v[45:46]
	v_fma_f64 v[53:54], v[21:22], s[2:3], v[89:90]
	s_mov_b32 s1, 0x3fed1bb4
	v_mul_f64 v[71:72], v[79:80], s[0:1]
	v_add_f64 v[43:44], v[43:44], v[47:48]
	v_add_f64 v[47:48], v[51:52], v[55:56]
	v_fma_f64 v[51:52], v[19:20], s[2:3], v[87:88]
	v_mul_f64 v[87:88], v[79:80], s[28:29]
	v_mul_f64 v[73:74], v[81:82], s[0:1]
	v_add_f64 v[45:46], v[45:46], v[49:50]
	v_add_f64 v[49:50], v[53:54], v[57:58]
	v_fma_f64 v[53:54], v[21:22], s[2:3], -v[89:90]
	v_mul_f64 v[89:90], v[81:82], s[28:29]
	v_fma_f64 v[55:56], v[19:20], s[34:35], -v[71:72]
	v_fma_f64 v[71:72], v[19:20], s[34:35], v[71:72]
	v_add_f64 v[51:52], v[51:52], v[63:64]
	v_fma_f64 v[63:64], v[19:20], s[86:87], -v[87:88]
	v_fma_f64 v[57:58], v[21:22], s[34:35], v[73:74]
	v_fma_f64 v[73:74], v[21:22], s[34:35], -v[73:74]
	v_add_f64 v[53:54], v[53:54], v[65:66]
	v_fma_f64 v[65:66], v[21:22], s[86:87], v[89:90]
	v_add_f64 v[55:56], v[55:56], v[75:76]
	v_add_f64 v[31:32], v[71:72], v[31:32]
	v_mul_f64 v[71:72], v[79:80], s[92:93]
	v_add_f64 v[63:64], v[63:64], v[67:68]
	v_add_f64 v[67:68], v[25:26], -v[41:42]
	v_add_f64 v[33:34], v[73:74], v[33:34]
	v_mul_f64 v[73:74], v[81:82], s[92:93]
	v_add_f64 v[65:66], v[65:66], v[69:70]
	v_add_f64 v[69:70], v[23:24], -v[39:40]
	v_fma_f64 v[75:76], v[19:20], s[86:87], v[87:88]
	v_fma_f64 v[79:80], v[19:20], s[94:95], -v[71:72]
	v_add_f64 v[23:24], v[23:24], v[39:40]
	v_mul_f64 v[39:40], v[67:68], s[92:93]
	v_fma_f64 v[19:20], v[19:20], s[94:95], v[71:72]
	v_mul_f64 v[71:72], v[67:68], s[84:85]
	v_add_f64 v[57:58], v[57:58], v[77:78]
	v_fma_f64 v[77:78], v[21:22], s[86:87], -v[89:90]
	v_fma_f64 v[81:82], v[21:22], s[94:95], v[73:74]
	v_add_f64 v[25:26], v[25:26], v[41:42]
	v_mul_f64 v[41:42], v[69:70], s[92:93]
	v_fma_f64 v[21:22], v[21:22], s[94:95], -v[73:74]
	v_mul_f64 v[73:74], v[69:70], s[84:85]
	v_add_f64 v[59:60], v[75:76], v[59:60]
	v_add_f64 v[75:76], v[79:80], v[83:84]
	v_fma_f64 v[79:80], v[23:24], s[94:95], -v[39:40]
	v_fma_f64 v[39:40], v[23:24], s[94:95], v[39:40]
	v_add_f64 v[11:12], v[19:20], v[11:12]
	v_fma_f64 v[19:20], v[23:24], s[90:91], -v[71:72]
	v_add_f64 v[61:62], v[77:78], v[61:62]
	v_add_f64 v[77:78], v[81:82], v[85:86]
	v_fma_f64 v[81:82], v[25:26], s[94:95], v[41:42]
	v_fma_f64 v[41:42], v[25:26], s[94:95], -v[41:42]
	v_add_f64 v[13:14], v[21:22], v[13:14]
	v_fma_f64 v[21:22], v[25:26], s[90:91], v[73:74]
	v_add_f64 v[39:40], v[39:40], v[43:44]
	v_mul_f64 v[43:44], v[67:68], s[28:29]
	v_add_f64 v[19:20], v[19:20], v[47:48]
	v_mul_f64 v[47:48], v[67:68], s[30:31]
	v_add_f64 v[15:16], v[79:80], v[15:16]
	v_add_f64 v[41:42], v[41:42], v[45:46]
	v_mul_f64 v[45:46], v[69:70], s[28:29]
	v_add_f64 v[21:22], v[21:22], v[49:50]
	v_mul_f64 v[49:50], v[69:70], s[30:31]
	v_fma_f64 v[79:80], v[23:24], s[86:87], -v[43:44]
	v_fma_f64 v[43:44], v[23:24], s[86:87], v[43:44]
	v_fma_f64 v[83:84], v[23:24], s[2:3], -v[47:48]
	v_add_f64 v[17:18], v[81:82], v[17:18]
	v_fma_f64 v[71:72], v[23:24], s[90:91], v[71:72]
	v_fma_f64 v[81:82], v[25:26], s[86:87], v[45:46]
	v_fma_f64 v[45:46], v[25:26], s[86:87], -v[45:46]
	v_fma_f64 v[85:86], v[25:26], s[2:3], v[49:50]
	v_fma_f64 v[73:74], v[25:26], s[90:91], -v[73:74]
	v_add_f64 v[31:32], v[43:44], v[31:32]
	v_add_f64 v[43:44], v[83:84], v[63:64]
	v_add_f64 v[63:64], v[29:30], -v[37:38]
	v_mul_f64 v[67:68], v[67:68], s[0:1]
	v_mul_f64 v[69:70], v[69:70], s[0:1]
	v_add_f64 v[33:34], v[45:46], v[33:34]
	v_add_f64 v[45:46], v[85:86], v[65:66]
	v_add_f64 v[65:66], v[27:28], -v[35:36]
	v_fma_f64 v[47:48], v[23:24], s[2:3], v[47:48]
	v_fma_f64 v[49:50], v[25:26], s[2:3], -v[49:50]
	v_add_f64 v[35:36], v[27:28], v[35:36]
	v_mul_f64 v[27:28], v[63:64], s[30:31]
	v_add_f64 v[51:52], v[71:72], v[51:52]
	v_add_f64 v[53:54], v[73:74], v[53:54]
	;; [unrolled: 1-line block ×3, first 2 shown]
	v_mul_f64 v[29:30], v[65:66], s[30:31]
	v_fma_f64 v[71:72], v[23:24], s[34:35], -v[67:68]
	v_fma_f64 v[73:74], v[25:26], s[34:35], v[69:70]
	v_add_f64 v[47:48], v[47:48], v[59:60]
	v_add_f64 v[59:60], v[49:50], v[61:62]
	v_fma_f64 v[23:24], v[23:24], s[34:35], v[67:68]
	v_fma_f64 v[49:50], v[35:36], s[2:3], -v[27:28]
	v_fma_f64 v[25:26], v[25:26], s[34:35], -v[69:70]
	v_fma_f64 v[61:62], v[37:38], s[2:3], v[29:30]
	v_add_f64 v[67:68], v[71:72], v[75:76]
	v_add_f64 v[69:70], v[73:74], v[77:78]
	v_mul_f64 v[71:72], v[63:64], s[88:89]
	v_mul_f64 v[73:74], v[65:66], s[88:89]
	v_add_f64 v[75:76], v[23:24], v[11:12]
	v_add_f64 v[11:12], v[49:50], v[15:16]
	v_fma_f64 v[15:16], v[35:36], s[2:3], v[27:28]
	v_mul_f64 v[27:28], v[63:64], s[92:93]
	v_add_f64 v[77:78], v[25:26], v[13:14]
	v_add_f64 v[13:14], v[61:62], v[17:18]
	v_fma_f64 v[17:18], v[37:38], s[2:3], -v[29:30]
	v_fma_f64 v[23:24], v[35:36], s[86:87], -v[71:72]
	v_fma_f64 v[25:26], v[37:38], s[86:87], v[73:74]
	v_fma_f64 v[29:30], v[35:36], s[86:87], v[71:72]
	v_fma_f64 v[49:50], v[37:38], s[86:87], -v[73:74]
	v_mul_f64 v[61:62], v[65:66], s[92:93]
	v_add_f64 v[55:56], v[79:80], v[55:56]
	v_add_f64 v[15:16], v[15:16], v[39:40]
	v_fma_f64 v[39:40], v[35:36], s[94:95], -v[27:28]
	v_add_f64 v[17:18], v[17:18], v[41:42]
	v_add_f64 v[19:20], v[23:24], v[19:20]
	;; [unrolled: 1-line block ×5, first 2 shown]
	v_fma_f64 v[41:42], v[35:36], s[94:95], v[27:28]
	v_fma_f64 v[49:50], v[37:38], s[94:95], -v[61:62]
	v_mul_f64 v[51:52], v[63:64], s[0:1]
	v_mul_f64 v[53:54], v[65:66], s[0:1]
	v_add_f64 v[57:58], v[81:82], v[57:58]
	v_fma_f64 v[29:30], v[37:38], s[94:95], v[61:62]
	v_add_f64 v[27:28], v[39:40], v[55:56]
	v_mul_f64 v[39:40], v[63:64], s[26:27]
	v_mul_f64 v[55:56], v[65:66], s[26:27]
	v_add_f64 v[31:32], v[41:42], v[31:32]
	v_add_f64 v[33:34], v[49:50], v[33:34]
	v_fma_f64 v[41:42], v[35:36], s[34:35], -v[51:52]
	v_fma_f64 v[49:50], v[37:38], s[34:35], v[53:54]
	v_add_f64 v[29:30], v[29:30], v[57:58]
	v_fma_f64 v[51:52], v[35:36], s[34:35], v[51:52]
	v_fma_f64 v[57:58], v[35:36], s[90:91], -v[39:40]
	v_fma_f64 v[61:62], v[37:38], s[90:91], v[55:56]
	v_fma_f64 v[63:64], v[35:36], s[90:91], v[39:40]
	v_fma_f64 v[55:56], v[37:38], s[90:91], -v[55:56]
	v_fma_f64 v[53:54], v[37:38], s[34:35], -v[53:54]
	v_add_f64 v[35:36], v[41:42], v[43:44]
	v_add_f64 v[37:38], v[49:50], v[45:46]
	;; [unrolled: 1-line block ×8, first 2 shown]
	ds_write_b128 v10, v[0:3]
	ds_write_b128 v10, v[11:14] offset:16
	ds_write_b128 v10, v[19:22] offset:32
	ds_write_b128 v10, v[27:30] offset:48
	ds_write_b128 v10, v[35:38] offset:64
	ds_write_b128 v10, v[43:46] offset:80
	ds_write_b128 v10, v[47:50] offset:96
	ds_write_b128 v10, v[39:42] offset:112
	ds_write_b128 v10, v[31:34] offset:128
	ds_write_b128 v10, v[23:26] offset:144
	ds_write_b128 v10, v[15:18] offset:160
	s_waitcnt lgkmcnt(0)
	s_barrier
	ds_read_b128 v[0:3], v10 offset:16
	ds_read_b128 v[11:14], v10 offset:32
	;; [unrolled: 1-line block ×3, first 2 shown]
	s_load_dwordx16 s[68:83], s[24:25], 0xc0
	ds_read_b128 v[19:22], v10 offset:64
	ds_read_b128 v[23:26], v10 offset:80
	s_waitcnt lgkmcnt(0)
	v_mul_f64 v[27:28], v[2:3], s[70:71]
	v_mul_f64 v[29:30], v[0:1], s[70:71]
	;; [unrolled: 1-line block ×8, first 2 shown]
	v_fma_f64 v[0:1], v[0:1], s[68:69], -v[27:28]
	v_fma_f64 v[2:3], v[2:3], s[68:69], v[29:30]
	v_fma_f64 v[11:12], v[11:12], s[72:73], -v[31:32]
	v_fma_f64 v[13:14], v[13:14], s[72:73], v[33:34]
	;; [unrolled: 2-line block ×4, first 2 shown]
	s_load_dwordx16 s[68:83], s[24:25], 0x100
	ds_read_b128 v[27:30], v10 offset:96
	ds_read_b128 v[31:34], v10 offset:112
	ds_read_b128 v[35:38], v10 offset:128
	ds_read_b128 v[39:42], v10 offset:144
	s_waitcnt lgkmcnt(0)
	v_mul_f64 v[43:44], v[25:26], s[70:71]
	v_mul_f64 v[45:46], v[23:24], s[70:71]
	v_mul_f64 v[51:52], v[33:34], s[78:79]
	v_mul_f64 v[53:54], v[31:32], s[78:79]
	v_mul_f64 v[55:56], v[37:38], s[82:83]
	v_mul_f64 v[57:58], v[35:36], s[82:83]
	s_load_dwordx8 s[24:31], s[24:25], 0x140
	v_fma_f64 v[23:24], v[23:24], s[68:69], -v[43:44]
	v_fma_f64 v[25:26], v[25:26], s[68:69], v[45:46]
	ds_read_b128 v[43:46], v10
	v_mul_f64 v[47:48], v[29:30], s[74:75]
	v_mul_f64 v[49:50], v[27:28], s[74:75]
	v_fma_f64 v[31:32], v[31:32], s[76:77], -v[51:52]
	v_fma_f64 v[33:34], v[33:34], s[76:77], v[53:54]
	v_fma_f64 v[35:36], v[35:36], s[80:81], -v[55:56]
	v_fma_f64 v[37:38], v[37:38], s[80:81], v[57:58]
	;; [unrolled: 2-line block ×3, first 2 shown]
	s_waitcnt lgkmcnt(0)
	v_mul_f64 v[47:48], v[45:46], s[22:23]
	v_mul_f64 v[49:50], v[43:44], s[22:23]
	s_mov_b32 s22, 0xf8bb580b
	s_mov_b32 s23, 0xbfe14ced
	v_fma_f64 v[43:44], v[43:44], s[20:21], -v[47:48]
	v_fma_f64 v[45:46], v[45:46], s[20:21], v[49:50]
	ds_read_b128 v[47:50], v10 offset:160
	v_mul_f64 v[51:52], v[41:42], s[26:27]
	v_mul_f64 v[53:54], v[39:40], s[26:27]
	ds_write_b128 v10, v[43:46]
	ds_write_b128 v10, v[0:3] offset:16
	ds_write_b128 v10, v[11:14] offset:32
	s_waitcnt lgkmcnt(3)
	v_mul_f64 v[55:56], v[49:50], s[30:31]
	v_mul_f64 v[57:58], v[47:48], s[30:31]
	v_fma_f64 v[0:1], v[39:40], s[24:25], -v[51:52]
	v_fma_f64 v[2:3], v[41:42], s[24:25], v[53:54]
	s_mov_b32 s24, 0x43842ef
	s_mov_b32 s25, 0xbfefac9e
	s_mov_b32 s26, 0xf8bb580b
	s_mov_b32 s27, 0xbfe14ced
	v_fma_f64 v[11:12], v[47:48], s[28:29], -v[55:56]
	v_fma_f64 v[13:14], v[49:50], s[28:29], v[57:58]
	ds_write_b128 v10, v[15:18] offset:48
	ds_write_b128 v10, v[19:22] offset:64
	ds_write_b128 v10, v[23:26] offset:80
	ds_write_b128 v10, v[27:30] offset:96
	ds_write_b128 v10, v[31:34] offset:112
	ds_write_b128 v10, v[35:38] offset:128
	ds_write_b128 v10, v[0:3] offset:144
	ds_write_b128 v10, v[11:14] offset:160
	s_waitcnt lgkmcnt(0)
	s_barrier
	ds_read_b128 v[11:14], v10
	ds_read_b128 v[0:3], v10 offset:16
	ds_read_b128 v[15:18], v10 offset:32
	;; [unrolled: 1-line block ×3, first 2 shown]
	s_mov_b32 s28, 0xfd768dbf
	s_mov_b32 s29, 0xbfd207e7
	s_waitcnt lgkmcnt(2)
	v_add_f64 v[23:24], v[11:12], v[0:1]
	v_add_f64 v[25:26], v[13:14], v[2:3]
	s_waitcnt lgkmcnt(1)
	v_add_f64 v[23:24], v[23:24], v[15:16]
	v_add_f64 v[25:26], v[25:26], v[17:18]
	;; [unrolled: 3-line block ×3, first 2 shown]
	ds_read_b128 v[23:26], v10 offset:64
	ds_read_b128 v[27:30], v10 offset:80
	s_waitcnt lgkmcnt(1)
	v_add_f64 v[31:32], v[31:32], v[23:24]
	v_add_f64 v[33:34], v[33:34], v[25:26]
	s_waitcnt lgkmcnt(0)
	v_add_f64 v[39:40], v[31:32], v[27:28]
	v_add_f64 v[41:42], v[33:34], v[29:30]
	ds_read_b128 v[31:34], v10 offset:96
	ds_read_b128 v[35:38], v10 offset:112
	;; [unrolled: 1-line block ×3, first 2 shown]
	s_waitcnt lgkmcnt(2)
	v_add_f64 v[43:44], v[39:40], v[31:32]
	v_add_f64 v[45:46], v[41:42], v[33:34]
	ds_read_b128 v[39:42], v10 offset:160
	s_waitcnt lgkmcnt(1)
	v_add_f64 v[89:90], v[17:18], -v[49:50]
	v_add_f64 v[17:18], v[17:18], v[49:50]
	v_add_f64 v[93:94], v[15:16], v[47:48]
	v_add_f64 v[15:16], v[15:16], -v[47:48]
	s_waitcnt lgkmcnt(0)
	v_add_f64 v[55:56], v[2:3], -v[41:42]
	v_add_f64 v[51:52], v[43:44], v[35:36]
	v_add_f64 v[2:3], v[2:3], v[41:42]
	;; [unrolled: 1-line block ×3, first 2 shown]
	ds_read_b128 v[43:46], v10 offset:128
	v_add_f64 v[59:60], v[0:1], -v[39:40]
	v_add_f64 v[57:58], v[0:1], v[39:40]
	v_mad_u64_u32 v[0:1], s[20:21], s6, v4, 0
	s_waitcnt lgkmcnt(0)
	v_add_f64 v[51:52], v[51:52], v[43:44]
	v_mul_f64 v[63:64], v[2:3], s[86:87]
	v_mul_f64 v[61:62], v[55:56], s[22:23]
	;; [unrolled: 1-line block ×5, first 2 shown]
	s_mov_b32 s20, 0x8eee2c13
	s_mov_b32 s21, 0xbfed1bb4
	v_add_f64 v[51:52], v[51:52], v[47:48]
	v_fma_f64 v[67:68], v[59:60], s[88:89], v[63:64]
	v_fma_f64 v[65:66], v[57:58], s[86:87], v[61:62]
	v_mul_f64 v[69:70], v[55:56], s[20:21]
	v_add_f64 v[53:54], v[53:54], v[45:46]
	v_mul_f64 v[73:74], v[55:56], s[24:25]
	v_mul_f64 v[75:76], v[2:3], s[90:91]
	v_fma_f64 v[85:86], v[57:58], s[94:95], v[81:82]
	v_add_f64 v[39:40], v[51:52], v[39:40]
	v_fma_f64 v[51:52], v[57:58], s[86:87], -v[61:62]
	v_add_f64 v[61:62], v[13:14], v[67:68]
	v_fma_f64 v[67:68], v[59:60], s[0:1], v[71:72]
	v_fma_f64 v[71:72], v[59:60], s[20:21], v[71:72]
	s_mov_b32 s21, 0x3fe82f19
	s_mov_b32 s20, s92
	v_fma_f64 v[87:88], v[59:60], s[20:21], v[83:84]
	v_fma_f64 v[81:82], v[57:58], s[94:95], -v[81:82]
	v_fma_f64 v[83:84], v[59:60], s[92:93], v[83:84]
	v_mul_f64 v[55:56], v[55:56], s[28:29]
	v_mul_f64 v[2:3], v[2:3], s[2:3]
	v_add_f64 v[53:54], v[53:54], v[49:50]
	v_mul_f64 v[95:96], v[17:18], s[34:35]
	v_fma_f64 v[63:64], v[59:60], s[22:23], v[63:64]
	s_mov_b32 s22, 0x8eee2c13
	v_add_f64 v[49:50], v[11:12], v[81:82]
	v_add_f64 v[81:82], v[13:14], v[83:84]
	v_fma_f64 v[83:84], v[57:58], s[2:3], v[55:56]
	v_fma_f64 v[91:92], v[59:60], vcc, v[2:3]
	s_mov_b32 s23, 0xbfed1bb4
	v_add_f64 v[41:42], v[53:54], v[41:42]
	v_add_f64 v[53:54], v[11:12], v[65:66]
	v_fma_f64 v[65:66], v[57:58], s[34:35], v[69:70]
	v_fma_f64 v[69:70], v[57:58], s[34:35], -v[69:70]
	v_fma_f64 v[77:78], v[57:58], s[90:91], v[73:74]
	v_fma_f64 v[79:80], v[59:60], s[84:85], v[75:76]
	v_fma_f64 v[73:74], v[57:58], s[90:91], -v[73:74]
	v_fma_f64 v[75:76], v[59:60], s[24:25], v[75:76]
	v_mul_f64 v[47:48], v[89:90], s[22:23]
	v_fma_f64 v[55:56], v[57:58], s[2:3], -v[55:56]
	v_fma_f64 v[2:3], v[59:60], s[28:29], v[2:3]
	v_add_f64 v[57:58], v[11:12], v[83:84]
	v_add_f64 v[59:60], v[13:14], v[91:92]
	v_mul_f64 v[83:84], v[89:90], s[92:93]
	v_mul_f64 v[91:92], v[17:18], s[94:95]
	v_fma_f64 v[99:100], v[15:16], s[0:1], v[95:96]
	v_add_f64 v[51:52], v[11:12], v[51:52]
	v_add_f64 v[63:64], v[13:14], v[63:64]
	;; [unrolled: 1-line block ×12, first 2 shown]
	v_fma_f64 v[97:98], v[93:94], s[34:35], v[47:48]
	v_add_f64 v[11:12], v[11:12], v[55:56]
	v_add_f64 v[2:3], v[13:14], v[2:3]
	v_fma_f64 v[13:14], v[93:94], s[34:35], -v[47:48]
	v_fma_f64 v[47:48], v[15:16], s[22:23], v[95:96]
	v_fma_f64 v[55:56], v[93:94], s[94:95], v[83:84]
	;; [unrolled: 1-line block ×3, first 2 shown]
	v_add_f64 v[61:62], v[99:100], v[61:62]
	v_mul_f64 v[99:100], v[17:18], s[2:3]
	v_add_f64 v[53:54], v[97:98], v[53:54]
	v_mul_f64 v[97:98], v[89:90], vcc
	v_add_f64 v[13:14], v[13:14], v[51:52]
	v_add_f64 v[47:48], v[47:48], v[63:64]
	;; [unrolled: 1-line block ×4, first 2 shown]
	v_fma_f64 v[63:64], v[93:94], s[94:95], -v[83:84]
	v_fma_f64 v[65:66], v[15:16], s[92:93], v[91:92]
	v_fma_f64 v[83:84], v[15:16], s[28:29], v[99:100]
	v_mul_f64 v[91:92], v[89:90], s[84:85]
	v_mul_f64 v[95:96], v[17:18], s[90:91]
	v_fma_f64 v[67:68], v[93:94], s[2:3], v[97:98]
	v_mul_f64 v[89:90], v[89:90], s[88:89]
	v_mul_f64 v[17:18], v[17:18], s[86:87]
	v_add_f64 v[63:64], v[63:64], v[69:70]
	v_add_f64 v[65:66], v[65:66], v[71:72]
	;; [unrolled: 1-line block ×3, first 2 shown]
	v_fma_f64 v[71:72], v[93:94], s[90:91], v[91:92]
	v_fma_f64 v[79:80], v[93:94], s[90:91], -v[91:92]
	v_fma_f64 v[83:84], v[15:16], s[84:85], v[95:96]
	v_add_f64 v[67:68], v[67:68], v[77:78]
	v_fma_f64 v[77:78], v[15:16], s[24:25], v[95:96]
	v_fma_f64 v[99:100], v[15:16], vcc, v[99:100]
	v_fma_f64 v[97:98], v[93:94], s[2:3], -v[97:98]
	v_add_f64 v[71:72], v[71:72], v[85:86]
	v_add_f64 v[85:86], v[21:22], -v[45:46]
	v_add_f64 v[21:22], v[21:22], v[45:46]
	v_add_f64 v[45:46], v[79:80], v[49:50]
	v_add_f64 v[49:50], v[83:84], v[81:82]
	v_fma_f64 v[79:80], v[93:94], s[86:87], v[89:90]
	v_fma_f64 v[81:82], v[15:16], s[26:27], v[17:18]
	v_add_f64 v[77:78], v[77:78], v[87:88]
	v_add_f64 v[83:84], v[19:20], v[43:44]
	v_add_f64 v[19:20], v[19:20], -v[43:44]
	v_mul_f64 v[43:44], v[85:86], s[24:25]
	v_mul_f64 v[87:88], v[21:22], s[90:91]
	v_fma_f64 v[89:90], v[93:94], s[86:87], -v[89:90]
	v_fma_f64 v[15:16], v[15:16], s[88:89], v[17:18]
	v_add_f64 v[17:18], v[79:80], v[57:58]
	v_add_f64 v[57:58], v[81:82], v[59:60]
	v_mul_f64 v[59:60], v[85:86], vcc
	v_mul_f64 v[79:80], v[21:22], s[2:3]
	v_fma_f64 v[81:82], v[83:84], s[90:91], v[43:44]
	v_fma_f64 v[91:92], v[19:20], s[84:85], v[87:88]
	v_add_f64 v[11:12], v[89:90], v[11:12]
	v_add_f64 v[2:3], v[15:16], v[2:3]
	v_fma_f64 v[15:16], v[83:84], s[90:91], -v[43:44]
	v_fma_f64 v[43:44], v[19:20], s[24:25], v[87:88]
	v_fma_f64 v[87:88], v[83:84], s[2:3], v[59:60]
	;; [unrolled: 1-line block ×3, first 2 shown]
	v_add_f64 v[53:54], v[81:82], v[53:54]
	v_add_f64 v[61:62], v[91:92], v[61:62]
	v_mul_f64 v[81:82], v[85:86], s[0:1]
	v_mul_f64 v[91:92], v[21:22], s[34:35]
	v_add_f64 v[13:14], v[15:16], v[13:14]
	v_add_f64 v[15:16], v[43:44], v[47:48]
	v_add_f64 v[43:44], v[87:88], v[51:52]
	v_add_f64 v[47:48], v[89:90], v[55:56]
	v_fma_f64 v[55:56], v[19:20], vcc, v[79:80]
	v_mul_f64 v[87:88], v[85:86], s[26:27]
	v_add_f64 v[73:74], v[97:98], v[73:74]
	v_add_f64 v[75:76], v[99:100], v[75:76]
	v_fma_f64 v[51:52], v[83:84], s[2:3], -v[59:60]
	v_fma_f64 v[59:60], v[83:84], s[34:35], v[81:82]
	v_fma_f64 v[79:80], v[19:20], s[22:23], v[91:92]
	v_mul_f64 v[89:90], v[21:22], s[86:87]
	v_fma_f64 v[81:82], v[83:84], s[34:35], -v[81:82]
	v_fma_f64 v[91:92], v[19:20], s[0:1], v[91:92]
	v_add_f64 v[55:56], v[55:56], v[65:66]
	v_fma_f64 v[65:66], v[83:84], s[86:87], v[87:88]
	v_add_f64 v[51:52], v[51:52], v[63:64]
	v_add_f64 v[59:60], v[59:60], v[67:68]
	;; [unrolled: 1-line block ×3, first 2 shown]
	v_fma_f64 v[67:68], v[19:20], s[88:89], v[89:90]
	v_add_f64 v[69:70], v[81:82], v[73:74]
	v_add_f64 v[73:74], v[91:92], v[75:76]
	v_mul_f64 v[75:76], v[85:86], s[92:93]
	v_mul_f64 v[21:22], v[21:22], s[94:95]
	v_fma_f64 v[79:80], v[83:84], s[86:87], -v[87:88]
	v_add_f64 v[65:66], v[65:66], v[71:72]
	v_add_f64 v[71:72], v[25:26], -v[37:38]
	v_fma_f64 v[81:82], v[19:20], s[26:27], v[89:90]
	v_add_f64 v[67:68], v[67:68], v[77:78]
	v_add_f64 v[25:26], v[25:26], v[37:38]
	v_fma_f64 v[37:38], v[83:84], s[94:95], v[75:76]
	v_fma_f64 v[77:78], v[19:20], s[20:21], v[21:22]
	v_add_f64 v[45:46], v[79:80], v[45:46]
	v_add_f64 v[79:80], v[23:24], v[35:36]
	v_add_f64 v[23:24], v[23:24], -v[35:36]
	v_mul_f64 v[35:36], v[71:72], s[92:93]
	v_add_f64 v[49:50], v[81:82], v[49:50]
	v_mul_f64 v[81:82], v[25:26], s[94:95]
	v_add_f64 v[17:18], v[37:38], v[17:18]
	v_add_f64 v[37:38], v[77:78], v[57:58]
	v_fma_f64 v[57:58], v[83:84], s[94:95], -v[75:76]
	v_fma_f64 v[19:20], v[19:20], s[92:93], v[21:22]
	v_mul_f64 v[21:22], v[71:72], s[84:85]
	v_fma_f64 v[77:78], v[79:80], s[94:95], v[35:36]
	v_fma_f64 v[35:36], v[79:80], s[94:95], -v[35:36]
	v_mul_f64 v[75:76], v[25:26], s[90:91]
	v_fma_f64 v[83:84], v[23:24], s[20:21], v[81:82]
	v_fma_f64 v[81:82], v[23:24], s[92:93], v[81:82]
	v_add_f64 v[11:12], v[57:58], v[11:12]
	v_add_f64 v[2:3], v[19:20], v[2:3]
	v_fma_f64 v[19:20], v[79:80], s[90:91], v[21:22]
	v_add_f64 v[53:54], v[77:78], v[53:54]
	v_add_f64 v[35:36], v[35:36], v[13:14]
	v_mul_f64 v[13:14], v[71:72], s[26:27]
	v_fma_f64 v[57:58], v[23:24], s[24:25], v[75:76]
	v_add_f64 v[77:78], v[81:82], v[15:16]
	v_mul_f64 v[15:16], v[25:26], s[86:87]
	v_fma_f64 v[75:76], v[23:24], s[84:85], v[75:76]
	v_add_f64 v[61:62], v[83:84], v[61:62]
	v_add_f64 v[19:20], v[19:20], v[43:44]
	v_fma_f64 v[21:22], v[79:80], s[90:91], -v[21:22]
	v_fma_f64 v[81:82], v[79:80], s[86:87], v[13:14]
	v_fma_f64 v[13:14], v[79:80], s[86:87], -v[13:14]
	v_add_f64 v[43:44], v[57:58], v[47:48]
	v_mul_f64 v[47:48], v[71:72], s[28:29]
	v_mul_f64 v[57:58], v[25:26], s[2:3]
	v_fma_f64 v[83:84], v[23:24], s[88:89], v[15:16]
	v_fma_f64 v[15:16], v[23:24], s[26:27], v[15:16]
	v_add_f64 v[55:56], v[75:76], v[55:56]
	v_add_f64 v[75:76], v[29:30], -v[33:34]
	v_add_f64 v[69:70], v[13:14], v[69:70]
	v_add_f64 v[29:30], v[29:30], v[33:34]
	v_mul_f64 v[13:14], v[71:72], s[0:1]
	v_fma_f64 v[85:86], v[79:80], s[2:3], v[47:48]
	v_fma_f64 v[87:88], v[23:24], vcc, v[57:58]
	v_add_f64 v[51:52], v[21:22], v[51:52]
	v_add_f64 v[73:74], v[15:16], v[73:74]
	v_mul_f64 v[15:16], v[25:26], s[34:35]
	v_fma_f64 v[21:22], v[79:80], s[2:3], -v[47:48]
	v_fma_f64 v[25:26], v[23:24], s[28:29], v[57:58]
	v_add_f64 v[47:48], v[27:28], v[31:32]
	v_add_f64 v[57:58], v[27:28], -v[31:32]
	v_mul_f64 v[27:28], v[75:76], s[28:29]
	v_mul_f64 v[31:32], v[29:30], s[2:3]
	v_fma_f64 v[33:34], v[79:80], s[34:35], v[13:14]
	v_add_f64 v[59:60], v[81:82], v[59:60]
	v_fma_f64 v[71:72], v[23:24], s[22:23], v[15:16]
	v_add_f64 v[45:46], v[21:22], v[45:46]
	v_add_f64 v[81:82], v[25:26], v[49:50]
	v_fma_f64 v[13:14], v[79:80], s[34:35], -v[13:14]
	v_fma_f64 v[15:16], v[23:24], s[0:1], v[15:16]
	v_fma_f64 v[21:22], v[47:48], s[2:3], v[27:28]
	v_fma_f64 v[23:24], v[57:58], vcc, v[31:32]
	v_add_f64 v[49:50], v[33:34], v[17:18]
	v_mul_f64 v[17:18], v[75:76], s[88:89]
	v_mul_f64 v[25:26], v[29:30], s[86:87]
	v_add_f64 v[71:72], v[71:72], v[37:38]
	v_add_f64 v[79:80], v[13:14], v[11:12]
	;; [unrolled: 1-line block ×5, first 2 shown]
	v_fma_f64 v[15:16], v[47:48], s[2:3], -v[27:28]
	v_fma_f64 v[21:22], v[57:58], s[28:29], v[31:32]
	v_fma_f64 v[23:24], v[47:48], s[86:87], v[17:18]
	;; [unrolled: 1-line block ×3, first 2 shown]
	v_fma_f64 v[33:34], v[47:48], s[86:87], -v[17:18]
	v_mul_f64 v[37:38], v[29:30], s[94:95]
	v_mul_f64 v[31:32], v[75:76], s[92:93]
	v_add_f64 v[63:64], v[83:84], v[63:64]
	v_fma_f64 v[25:26], v[57:58], s[88:89], v[25:26]
	v_add_f64 v[15:16], v[15:16], v[35:36]
	v_add_f64 v[17:18], v[21:22], v[77:78]
	;; [unrolled: 1-line block ×5, first 2 shown]
	v_fma_f64 v[33:34], v[57:58], s[20:21], v[37:38]
	v_fma_f64 v[35:36], v[57:58], s[92:93], v[37:38]
	v_mul_f64 v[37:38], v[75:76], s[0:1]
	v_mul_f64 v[43:44], v[29:30], s[34:35]
	v_mul_f64 v[51:52], v[75:76], s[24:25]
	v_mul_f64 v[53:54], v[29:30], s[90:91]
	v_fma_f64 v[27:28], v[47:48], s[94:95], v[31:32]
	v_add_f64 v[65:66], v[85:86], v[65:66]
	v_add_f64 v[67:68], v[87:88], v[67:68]
	;; [unrolled: 1-line block ×5, first 2 shown]
	v_fma_f64 v[35:36], v[47:48], s[34:35], v[37:38]
	v_fma_f64 v[55:56], v[57:58], s[22:23], v[43:44]
	;; [unrolled: 1-line block ×4, first 2 shown]
	v_fma_f64 v[51:52], v[47:48], s[90:91], -v[51:52]
	v_fma_f64 v[53:54], v[57:58], s[24:25], v[53:54]
	v_add_f64 v[27:28], v[27:28], v[59:60]
	v_fma_f64 v[59:60], v[47:48], s[34:35], -v[37:38]
	v_fma_f64 v[57:58], v[57:58], s[0:1], v[43:44]
	v_fma_f64 v[31:32], v[47:48], s[94:95], -v[31:32]
	v_add_f64 v[35:36], v[35:36], v[65:66]
	v_add_f64 v[37:38], v[55:56], v[67:68]
	;; [unrolled: 1-line block ×9, first 2 shown]
	ds_write_b128 v10, v[39:42]
	ds_write_b128 v10, v[11:14] offset:16
	ds_write_b128 v10, v[19:22] offset:32
	;; [unrolled: 1-line block ×10, first 2 shown]
	s_waitcnt lgkmcnt(0)
	s_barrier
	ds_read_b128 v[11:14], v10
	ds_read_b128 v[15:18], v10 offset:16
	s_waitcnt lgkmcnt(1)
	v_mul_f64 v[2:3], s[54:55], v[13:14]
	v_mul_f64 v[19:20], s[54:55], v[11:12]
	s_waitcnt lgkmcnt(0)
	v_mul_f64 v[27:28], s[58:59], v[17:18]
	v_mul_f64 v[29:30], s[58:59], v[15:16]
	v_mad_u64_u32 v[21:22], s[0:1], s7, v4, v[1:2]
	v_fma_f64 v[2:3], s[52:53], v[11:12], v[2:3]
	v_readlane_b32 s0, v103, 0
	v_mov_b32_e32 v1, v21
	v_fma_f64 v[25:26], s[52:53], v[13:14], -v[19:20]
	ds_read_b128 v[11:14], v10 offset:32
	ds_read_b128 v[19:22], v10 offset:48
	v_readlane_b32 s1, v103, 1
	s_load_dwordx2 s[2:3], s[0:1], 0x38
	s_mov_b32 s0, 0x745d1746
	s_mov_b32 s1, 0x3fb745d1
	v_mul_f64 v[23:24], v[2:3], s[0:1]
	v_fma_f64 v[2:3], s[56:57], v[15:16], v[27:28]
	v_fma_f64 v[15:16], s[56:57], v[17:18], -v[29:30]
	s_waitcnt lgkmcnt(0)
	v_mul_f64 v[17:18], s[62:63], v[13:14]
	v_mul_f64 v[27:28], s[62:63], v[11:12]
	v_lshlrev_b64 v[0:1], 4, v[0:1]
	v_mul_f64 v[25:26], v[25:26], s[0:1]
	v_mov_b32_e32 v4, s3
	v_add_co_u32_e32 v29, vcc, s2, v0
	v_addc_co_u32_e32 v30, vcc, v4, v1, vcc
	v_mul_f64 v[0:1], v[2:3], s[0:1]
	v_mul_f64 v[2:3], v[15:16], s[0:1]
	v_fma_f64 v[11:12], s[60:61], v[11:12], v[17:18]
	v_fma_f64 v[13:14], s[60:61], v[13:14], -v[27:28]
	s_lshl_b64 s[2:3], s[4:5], 4
	v_mul_f64 v[15:16], s[66:67], v[21:22]
	v_mul_f64 v[17:18], s[66:67], v[19:20]
	global_store_dwordx4 v[29:30], v[23:26], off
	v_mov_b32_e32 v4, s3
	v_add_co_u32_e32 v23, vcc, s2, v29
	v_addc_co_u32_e32 v24, vcc, v30, v4, vcc
	global_store_dwordx4 v[23:24], v[0:3], off
	v_fma_f64 v[19:20], s[64:65], v[19:20], v[15:16]
	v_mul_f64 v[0:1], v[11:12], s[0:1]
	v_mul_f64 v[2:3], v[13:14], s[0:1]
	ds_read_b128 v[11:14], v10 offset:64
	v_fma_f64 v[21:22], s[64:65], v[21:22], -v[17:18]
	ds_read_b128 v[15:18], v10 offset:80
	v_mad_u64_u32 v[23:24], s[6:7], s4, 48, v[29:30]
	s_waitcnt lgkmcnt(1)
	v_mul_f64 v[25:26], s[38:39], v[13:14]
	v_mul_f64 v[27:28], s[38:39], v[11:12]
	s_lshl_b64 s[2:3], s[4:5], 5
	v_mov_b32_e32 v33, s3
	v_mov_b32_e32 v4, v24
	v_add_co_u32_e32 v24, vcc, s2, v29
	v_mul_f64 v[19:20], v[19:20], s[0:1]
	v_fma_f64 v[11:12], s[36:37], v[11:12], v[25:26]
	v_fma_f64 v[13:14], s[36:37], v[13:14], -v[27:28]
	v_addc_co_u32_e32 v25, vcc, v30, v33, vcc
	v_mul_f64 v[21:22], v[21:22], s[0:1]
	global_store_dwordx4 v[24:25], v[0:3], off
	s_waitcnt lgkmcnt(0)
	v_mul_f64 v[25:26], s[42:43], v[17:18]
	v_mul_f64 v[27:28], s[42:43], v[15:16]
	v_mad_u64_u32 v[31:32], s[6:7], s5, 48, v[4:5]
	v_mul_f64 v[0:1], v[11:12], s[0:1]
	v_mul_f64 v[2:3], v[13:14], s[0:1]
	ds_read_b128 v[11:14], v10 offset:96
	v_mov_b32_e32 v24, v31
	global_store_dwordx4 v[23:24], v[19:22], off
	s_lshl_b64 s[2:3], s[4:5], 6
	v_fma_f64 v[19:20], s[40:41], v[15:16], v[25:26]
	v_fma_f64 v[21:22], s[40:41], v[17:18], -v[27:28]
	ds_read_b128 v[15:18], v10 offset:112
	s_waitcnt lgkmcnt(1)
	v_mul_f64 v[23:24], s[46:47], v[13:14]
	v_mul_f64 v[25:26], s[46:47], v[11:12]
	v_mov_b32_e32 v4, s3
	v_add_co_u32_e32 v27, vcc, s2, v29
	v_mul_f64 v[19:20], v[19:20], s[0:1]
	v_mul_f64 v[21:22], v[21:22], s[0:1]
	v_mad_u64_u32 v[31:32], s[2:3], s4, v6, v[29:30]
	v_fma_f64 v[11:12], s[44:45], v[11:12], v[23:24]
	v_fma_f64 v[13:14], s[44:45], v[13:14], -v[25:26]
	s_waitcnt lgkmcnt(0)
	v_mul_f64 v[23:24], s[50:51], v[17:18]
	v_mul_f64 v[25:26], s[50:51], v[15:16]
	s_mul_i32 s2, s5, 0x50
	v_addc_co_u32_e32 v28, vcc, v30, v4, vcc
	v_add_u32_e32 v32, s2, v32
	global_store_dwordx4 v[27:28], v[0:3], off
	global_store_dwordx4 v[31:32], v[19:22], off
	v_mul_f64 v[0:1], v[11:12], s[0:1]
	v_mul_f64 v[2:3], v[13:14], s[0:1]
	v_fma_f64 v[19:20], s[48:49], v[15:16], v[23:24]
	v_fma_f64 v[21:22], s[48:49], v[17:18], -v[25:26]
	v_mad_u64_u32 v[6:7], s[2:3], s4, v7, v[29:30]
	ds_read_b128 v[11:14], v10 offset:128
	ds_read_b128 v[15:18], v10 offset:144
	s_mul_i32 s2, s5, 0x60
	v_add_u32_e32 v7, s2, v7
	global_store_dwordx4 v[6:7], v[0:3], off
	s_waitcnt lgkmcnt(1)
	v_mul_f64 v[23:24], s[10:11], v[13:14]
	v_mul_f64 v[25:26], s[10:11], v[11:12]
	;; [unrolled: 1-line block ×4, first 2 shown]
	v_mad_u64_u32 v[19:20], s[2:3], s4, v5, v[29:30]
	ds_read_b128 v[4:7], v10 offset:160
	s_mul_i32 s2, s5, 0x70
	v_add_u32_e32 v20, s2, v20
	v_fma_f64 v[11:12], s[8:9], v[11:12], v[23:24]
	v_fma_f64 v[13:14], s[8:9], v[13:14], -v[25:26]
	global_store_dwordx4 v[19:20], v[0:3], off
	s_waitcnt lgkmcnt(1)
	v_mul_f64 v[19:20], s[14:15], v[17:18]
	v_mul_f64 v[21:22], s[14:15], v[15:16]
	s_waitcnt lgkmcnt(0)
	v_mul_f64 v[23:24], s[18:19], v[6:7]
	v_mul_f64 v[25:26], s[18:19], v[4:5]
	s_lshl_b64 s[2:3], s[4:5], 7
	v_mul_f64 v[0:1], v[11:12], s[0:1]
	v_mul_f64 v[2:3], v[13:14], s[0:1]
	v_mov_b32_e32 v27, s3
	v_fma_f64 v[10:11], s[12:13], v[15:16], v[19:20]
	v_fma_f64 v[12:13], s[12:13], v[17:18], -v[21:22]
	v_fma_f64 v[4:5], s[16:17], v[4:5], v[23:24]
	v_fma_f64 v[6:7], s[16:17], v[6:7], -v[25:26]
	v_add_co_u32_e32 v14, vcc, s2, v29
	v_addc_co_u32_e32 v15, vcc, v30, v27, vcc
	global_store_dwordx4 v[14:15], v[0:3], off
	v_mul_f64 v[4:5], v[4:5], s[0:1]
	v_mul_f64 v[0:1], v[10:11], s[0:1]
	;; [unrolled: 1-line block ×4, first 2 shown]
	v_mad_u64_u32 v[10:11], s[2:3], s4, v8, v[29:30]
	v_mad_u64_u32 v[8:9], s[0:1], s4, v9, v[29:30]
	s_mul_i32 s2, s5, 0x90
	s_mul_i32 s0, s5, 0xa0
	v_add_u32_e32 v11, s2, v11
	v_add_u32_e32 v9, s0, v9
	global_store_dwordx4 v[10:11], v[0:3], off
	global_store_dwordx4 v[8:9], v[4:7], off
.LBB0_2:
	s_endpgm
	.section	.rodata,"a",@progbits
	.p2align	6, 0x0
	.amdhsa_kernel bluestein_single_fwd_len11_dim1_dp_op_CI_CI
		.amdhsa_group_segment_fixed_size 22528
		.amdhsa_private_segment_fixed_size 0
		.amdhsa_kernarg_size 104
		.amdhsa_user_sgpr_count 6
		.amdhsa_user_sgpr_private_segment_buffer 1
		.amdhsa_user_sgpr_dispatch_ptr 0
		.amdhsa_user_sgpr_queue_ptr 0
		.amdhsa_user_sgpr_kernarg_segment_ptr 1
		.amdhsa_user_sgpr_dispatch_id 0
		.amdhsa_user_sgpr_flat_scratch_init 0
		.amdhsa_user_sgpr_private_segment_size 0
		.amdhsa_uses_dynamic_stack 0
		.amdhsa_system_sgpr_private_segment_wavefront_offset 0
		.amdhsa_system_sgpr_workgroup_id_x 1
		.amdhsa_system_sgpr_workgroup_id_y 0
		.amdhsa_system_sgpr_workgroup_id_z 0
		.amdhsa_system_sgpr_workgroup_info 0
		.amdhsa_system_vgpr_workitem_id 0
		.amdhsa_next_free_vgpr 104
		.amdhsa_next_free_sgpr 96
		.amdhsa_reserve_vcc 1
		.amdhsa_reserve_flat_scratch 0
		.amdhsa_float_round_mode_32 0
		.amdhsa_float_round_mode_16_64 0
		.amdhsa_float_denorm_mode_32 3
		.amdhsa_float_denorm_mode_16_64 3
		.amdhsa_dx10_clamp 1
		.amdhsa_ieee_mode 1
		.amdhsa_fp16_overflow 0
		.amdhsa_exception_fp_ieee_invalid_op 0
		.amdhsa_exception_fp_denorm_src 0
		.amdhsa_exception_fp_ieee_div_zero 0
		.amdhsa_exception_fp_ieee_overflow 0
		.amdhsa_exception_fp_ieee_underflow 0
		.amdhsa_exception_fp_ieee_inexact 0
		.amdhsa_exception_int_div_zero 0
	.end_amdhsa_kernel
	.text
.Lfunc_end0:
	.size	bluestein_single_fwd_len11_dim1_dp_op_CI_CI, .Lfunc_end0-bluestein_single_fwd_len11_dim1_dp_op_CI_CI
                                        ; -- End function
	.section	.AMDGPU.csdata,"",@progbits
; Kernel info:
; codeLenInByte = 7968
; NumSgprs: 100
; NumVgprs: 104
; ScratchSize: 0
; MemoryBound: 0
; FloatMode: 240
; IeeeMode: 1
; LDSByteSize: 22528 bytes/workgroup (compile time only)
; SGPRBlocks: 12
; VGPRBlocks: 25
; NumSGPRsForWavesPerEU: 100
; NumVGPRsForWavesPerEU: 104
; Occupancy: 1
; WaveLimiterHint : 1
; COMPUTE_PGM_RSRC2:SCRATCH_EN: 0
; COMPUTE_PGM_RSRC2:USER_SGPR: 6
; COMPUTE_PGM_RSRC2:TRAP_HANDLER: 0
; COMPUTE_PGM_RSRC2:TGID_X_EN: 1
; COMPUTE_PGM_RSRC2:TGID_Y_EN: 0
; COMPUTE_PGM_RSRC2:TGID_Z_EN: 0
; COMPUTE_PGM_RSRC2:TIDIG_COMP_CNT: 0
	.type	__hip_cuid_275be9a6f67aa372,@object ; @__hip_cuid_275be9a6f67aa372
	.section	.bss,"aw",@nobits
	.globl	__hip_cuid_275be9a6f67aa372
__hip_cuid_275be9a6f67aa372:
	.byte	0                               ; 0x0
	.size	__hip_cuid_275be9a6f67aa372, 1

	.ident	"AMD clang version 19.0.0git (https://github.com/RadeonOpenCompute/llvm-project roc-6.4.0 25133 c7fe45cf4b819c5991fe208aaa96edf142730f1d)"
	.section	".note.GNU-stack","",@progbits
	.addrsig
	.addrsig_sym __hip_cuid_275be9a6f67aa372
	.amdgpu_metadata
---
amdhsa.kernels:
  - .args:
      - .actual_access:  read_only
        .address_space:  global
        .offset:         0
        .size:           8
        .value_kind:     global_buffer
      - .actual_access:  read_only
        .address_space:  global
        .offset:         8
        .size:           8
        .value_kind:     global_buffer
      - .actual_access:  read_only
        .address_space:  global
        .offset:         16
        .size:           8
        .value_kind:     global_buffer
      - .actual_access:  read_only
        .address_space:  global
        .offset:         24
        .size:           8
        .value_kind:     global_buffer
      - .actual_access:  read_only
        .address_space:  global
        .offset:         32
        .size:           8
        .value_kind:     global_buffer
      - .offset:         40
        .size:           8
        .value_kind:     by_value
      - .address_space:  global
        .offset:         48
        .size:           8
        .value_kind:     global_buffer
      - .address_space:  global
        .offset:         56
        .size:           8
        .value_kind:     global_buffer
      - .address_space:  global
        .offset:         64
        .size:           8
        .value_kind:     global_buffer
      - .address_space:  global
        .offset:         72
        .size:           8
        .value_kind:     global_buffer
      - .offset:         80
        .size:           4
        .value_kind:     by_value
      - .address_space:  global
        .offset:         88
        .size:           8
        .value_kind:     global_buffer
      - .address_space:  global
        .offset:         96
        .size:           8
        .value_kind:     global_buffer
    .group_segment_fixed_size: 22528
    .kernarg_segment_align: 8
    .kernarg_segment_size: 104
    .language:       OpenCL C
    .language_version:
      - 2
      - 0
    .max_flat_workgroup_size: 128
    .name:           bluestein_single_fwd_len11_dim1_dp_op_CI_CI
    .private_segment_fixed_size: 0
    .sgpr_count:     100
    .sgpr_spill_count: 2
    .symbol:         bluestein_single_fwd_len11_dim1_dp_op_CI_CI.kd
    .uniform_work_group_size: 1
    .uses_dynamic_stack: false
    .vgpr_count:     104
    .vgpr_spill_count: 0
    .wavefront_size: 64
amdhsa.target:   amdgcn-amd-amdhsa--gfx906
amdhsa.version:
  - 1
  - 2
...

	.end_amdgpu_metadata
